;; amdgpu-corpus repo=ROCm/rocFFT kind=compiled arch=gfx906 opt=O3
	.text
	.amdgcn_target "amdgcn-amd-amdhsa--gfx906"
	.amdhsa_code_object_version 6
	.protected	fft_rtc_fwd_len1050_factors_2_3_5_5_7_wgs_210_tpt_210_dp_ip_CI_sbrr_dirReg ; -- Begin function fft_rtc_fwd_len1050_factors_2_3_5_5_7_wgs_210_tpt_210_dp_ip_CI_sbrr_dirReg
	.globl	fft_rtc_fwd_len1050_factors_2_3_5_5_7_wgs_210_tpt_210_dp_ip_CI_sbrr_dirReg
	.p2align	8
	.type	fft_rtc_fwd_len1050_factors_2_3_5_5_7_wgs_210_tpt_210_dp_ip_CI_sbrr_dirReg,@function
fft_rtc_fwd_len1050_factors_2_3_5_5_7_wgs_210_tpt_210_dp_ip_CI_sbrr_dirReg: ; @fft_rtc_fwd_len1050_factors_2_3_5_5_7_wgs_210_tpt_210_dp_ip_CI_sbrr_dirReg
; %bb.0:
	s_load_dwordx2 s[14:15], s[4:5], 0x18
	s_load_dwordx4 s[8:11], s[4:5], 0x0
	s_load_dwordx2 s[12:13], s[4:5], 0x50
	v_mul_u32_u24_e32 v1, 0x139, v0
	v_add_u32_sdwa v5, s6, v1 dst_sel:DWORD dst_unused:UNUSED_PAD src0_sel:DWORD src1_sel:WORD_1
	s_waitcnt lgkmcnt(0)
	s_load_dwordx2 s[2:3], s[14:15], 0x0
	v_cmp_lt_u64_e64 s[0:1], s[10:11], 2
	v_mov_b32_e32 v3, 0
	v_mov_b32_e32 v1, 0
	;; [unrolled: 1-line block ×3, first 2 shown]
	s_and_b64 vcc, exec, s[0:1]
	v_mov_b32_e32 v2, 0
	s_cbranch_vccnz .LBB0_8
; %bb.1:
	s_load_dwordx2 s[0:1], s[4:5], 0x10
	s_add_u32 s6, s14, 8
	s_addc_u32 s7, s15, 0
	v_mov_b32_e32 v1, 0
	v_mov_b32_e32 v2, 0
	s_waitcnt lgkmcnt(0)
	s_add_u32 s16, s0, 8
	s_addc_u32 s17, s1, 0
	s_mov_b64 s[18:19], 1
.LBB0_2:                                ; =>This Inner Loop Header: Depth=1
	s_load_dwordx2 s[20:21], s[16:17], 0x0
                                        ; implicit-def: $vgpr7_vgpr8
	s_waitcnt lgkmcnt(0)
	v_or_b32_e32 v4, s21, v6
	v_cmp_ne_u64_e32 vcc, 0, v[3:4]
	s_and_saveexec_b64 s[0:1], vcc
	s_xor_b64 s[22:23], exec, s[0:1]
	s_cbranch_execz .LBB0_4
; %bb.3:                                ;   in Loop: Header=BB0_2 Depth=1
	v_cvt_f32_u32_e32 v4, s20
	v_cvt_f32_u32_e32 v7, s21
	s_sub_u32 s0, 0, s20
	s_subb_u32 s1, 0, s21
	v_mac_f32_e32 v4, 0x4f800000, v7
	v_rcp_f32_e32 v4, v4
	v_mul_f32_e32 v4, 0x5f7ffffc, v4
	v_mul_f32_e32 v7, 0x2f800000, v4
	v_trunc_f32_e32 v7, v7
	v_mac_f32_e32 v4, 0xcf800000, v7
	v_cvt_u32_f32_e32 v7, v7
	v_cvt_u32_f32_e32 v4, v4
	v_mul_lo_u32 v8, s0, v7
	v_mul_hi_u32 v9, s0, v4
	v_mul_lo_u32 v11, s1, v4
	v_mul_lo_u32 v10, s0, v4
	v_add_u32_e32 v8, v9, v8
	v_add_u32_e32 v8, v8, v11
	v_mul_hi_u32 v9, v4, v10
	v_mul_lo_u32 v11, v4, v8
	v_mul_hi_u32 v13, v4, v8
	v_mul_hi_u32 v12, v7, v10
	v_mul_lo_u32 v10, v7, v10
	v_mul_hi_u32 v14, v7, v8
	v_add_co_u32_e32 v9, vcc, v9, v11
	v_addc_co_u32_e32 v11, vcc, 0, v13, vcc
	v_mul_lo_u32 v8, v7, v8
	v_add_co_u32_e32 v9, vcc, v9, v10
	v_addc_co_u32_e32 v9, vcc, v11, v12, vcc
	v_addc_co_u32_e32 v10, vcc, 0, v14, vcc
	v_add_co_u32_e32 v8, vcc, v9, v8
	v_addc_co_u32_e32 v9, vcc, 0, v10, vcc
	v_add_co_u32_e32 v4, vcc, v4, v8
	v_addc_co_u32_e32 v7, vcc, v7, v9, vcc
	v_mul_lo_u32 v8, s0, v7
	v_mul_hi_u32 v9, s0, v4
	v_mul_lo_u32 v10, s1, v4
	v_mul_lo_u32 v11, s0, v4
	v_add_u32_e32 v8, v9, v8
	v_add_u32_e32 v8, v8, v10
	v_mul_lo_u32 v12, v4, v8
	v_mul_hi_u32 v13, v4, v11
	v_mul_hi_u32 v14, v4, v8
	;; [unrolled: 1-line block ×3, first 2 shown]
	v_mul_lo_u32 v11, v7, v11
	v_mul_hi_u32 v9, v7, v8
	v_add_co_u32_e32 v12, vcc, v13, v12
	v_addc_co_u32_e32 v13, vcc, 0, v14, vcc
	v_mul_lo_u32 v8, v7, v8
	v_add_co_u32_e32 v11, vcc, v12, v11
	v_addc_co_u32_e32 v10, vcc, v13, v10, vcc
	v_addc_co_u32_e32 v9, vcc, 0, v9, vcc
	v_add_co_u32_e32 v8, vcc, v10, v8
	v_addc_co_u32_e32 v9, vcc, 0, v9, vcc
	v_add_co_u32_e32 v4, vcc, v4, v8
	v_addc_co_u32_e32 v9, vcc, v7, v9, vcc
	v_mad_u64_u32 v[7:8], s[0:1], v5, v9, 0
	v_mul_hi_u32 v10, v5, v4
	v_add_co_u32_e32 v11, vcc, v10, v7
	v_addc_co_u32_e32 v12, vcc, 0, v8, vcc
	v_mad_u64_u32 v[7:8], s[0:1], v6, v4, 0
	v_mad_u64_u32 v[9:10], s[0:1], v6, v9, 0
	v_add_co_u32_e32 v4, vcc, v11, v7
	v_addc_co_u32_e32 v4, vcc, v12, v8, vcc
	v_addc_co_u32_e32 v7, vcc, 0, v10, vcc
	v_add_co_u32_e32 v4, vcc, v4, v9
	v_addc_co_u32_e32 v9, vcc, 0, v7, vcc
	v_mul_lo_u32 v10, s21, v4
	v_mul_lo_u32 v11, s20, v9
	v_mad_u64_u32 v[7:8], s[0:1], s20, v4, 0
	v_add3_u32 v8, v8, v11, v10
	v_sub_u32_e32 v10, v6, v8
	v_mov_b32_e32 v11, s21
	v_sub_co_u32_e32 v7, vcc, v5, v7
	v_subb_co_u32_e64 v10, s[0:1], v10, v11, vcc
	v_subrev_co_u32_e64 v11, s[0:1], s20, v7
	v_subbrev_co_u32_e64 v10, s[0:1], 0, v10, s[0:1]
	v_cmp_le_u32_e64 s[0:1], s21, v10
	v_cndmask_b32_e64 v12, 0, -1, s[0:1]
	v_cmp_le_u32_e64 s[0:1], s20, v11
	v_cndmask_b32_e64 v11, 0, -1, s[0:1]
	v_cmp_eq_u32_e64 s[0:1], s21, v10
	v_cndmask_b32_e64 v10, v12, v11, s[0:1]
	v_add_co_u32_e64 v11, s[0:1], 2, v4
	v_addc_co_u32_e64 v12, s[0:1], 0, v9, s[0:1]
	v_add_co_u32_e64 v13, s[0:1], 1, v4
	v_addc_co_u32_e64 v14, s[0:1], 0, v9, s[0:1]
	v_subb_co_u32_e32 v8, vcc, v6, v8, vcc
	v_cmp_ne_u32_e64 s[0:1], 0, v10
	v_cmp_le_u32_e32 vcc, s21, v8
	v_cndmask_b32_e64 v10, v14, v12, s[0:1]
	v_cndmask_b32_e64 v12, 0, -1, vcc
	v_cmp_le_u32_e32 vcc, s20, v7
	v_cndmask_b32_e64 v7, 0, -1, vcc
	v_cmp_eq_u32_e32 vcc, s21, v8
	v_cndmask_b32_e32 v7, v12, v7, vcc
	v_cmp_ne_u32_e32 vcc, 0, v7
	v_cndmask_b32_e64 v7, v13, v11, s[0:1]
	v_cndmask_b32_e32 v8, v9, v10, vcc
	v_cndmask_b32_e32 v7, v4, v7, vcc
.LBB0_4:                                ;   in Loop: Header=BB0_2 Depth=1
	s_andn2_saveexec_b64 s[0:1], s[22:23]
	s_cbranch_execz .LBB0_6
; %bb.5:                                ;   in Loop: Header=BB0_2 Depth=1
	v_cvt_f32_u32_e32 v4, s20
	s_sub_i32 s22, 0, s20
	v_rcp_iflag_f32_e32 v4, v4
	v_mul_f32_e32 v4, 0x4f7ffffe, v4
	v_cvt_u32_f32_e32 v4, v4
	v_mul_lo_u32 v7, s22, v4
	v_mul_hi_u32 v7, v4, v7
	v_add_u32_e32 v4, v4, v7
	v_mul_hi_u32 v4, v5, v4
	v_mul_lo_u32 v7, v4, s20
	v_add_u32_e32 v8, 1, v4
	v_sub_u32_e32 v7, v5, v7
	v_subrev_u32_e32 v9, s20, v7
	v_cmp_le_u32_e32 vcc, s20, v7
	v_cndmask_b32_e32 v7, v7, v9, vcc
	v_cndmask_b32_e32 v4, v4, v8, vcc
	v_add_u32_e32 v8, 1, v4
	v_cmp_le_u32_e32 vcc, s20, v7
	v_cndmask_b32_e32 v7, v4, v8, vcc
	v_mov_b32_e32 v8, v3
.LBB0_6:                                ;   in Loop: Header=BB0_2 Depth=1
	s_or_b64 exec, exec, s[0:1]
	v_mul_lo_u32 v4, v8, s20
	v_mul_lo_u32 v11, v7, s21
	v_mad_u64_u32 v[9:10], s[0:1], v7, s20, 0
	s_load_dwordx2 s[0:1], s[6:7], 0x0
	s_add_u32 s18, s18, 1
	v_add3_u32 v4, v10, v11, v4
	v_sub_co_u32_e32 v5, vcc, v5, v9
	v_subb_co_u32_e32 v4, vcc, v6, v4, vcc
	s_waitcnt lgkmcnt(0)
	v_mul_lo_u32 v4, s0, v4
	v_mul_lo_u32 v6, s1, v5
	v_mad_u64_u32 v[1:2], s[0:1], s0, v5, v[1:2]
	s_addc_u32 s19, s19, 0
	s_add_u32 s6, s6, 8
	v_add3_u32 v2, v6, v2, v4
	v_mov_b32_e32 v4, s10
	v_mov_b32_e32 v5, s11
	s_addc_u32 s7, s7, 0
	v_cmp_ge_u64_e32 vcc, s[18:19], v[4:5]
	s_add_u32 s16, s16, 8
	s_addc_u32 s17, s17, 0
	s_cbranch_vccnz .LBB0_9
; %bb.7:                                ;   in Loop: Header=BB0_2 Depth=1
	v_mov_b32_e32 v5, v7
	v_mov_b32_e32 v6, v8
	s_branch .LBB0_2
.LBB0_8:
	v_mov_b32_e32 v8, v6
	v_mov_b32_e32 v7, v5
.LBB0_9:
	s_lshl_b64 s[0:1], s[10:11], 3
	s_add_u32 s0, s14, s0
	s_addc_u32 s1, s15, s1
	s_load_dwordx2 s[6:7], s[0:1], 0x0
	s_load_dwordx2 s[10:11], s[4:5], 0x20
                                        ; implicit-def: $vgpr24
	s_waitcnt lgkmcnt(0)
	v_mad_u64_u32 v[1:2], s[0:1], s6, v7, v[1:2]
	s_mov_b32 s0, 0x1381382
	v_mul_lo_u32 v3, s6, v8
	v_mul_lo_u32 v4, s7, v7
	v_mul_hi_u32 v5, v0, s0
	v_cmp_gt_u64_e32 vcc, s[10:11], v[7:8]
	v_cmp_le_u64_e64 s[0:1], s[10:11], v[7:8]
	v_add3_u32 v2, v4, v2, v3
	v_mul_u32_u24_e32 v3, 0xd2, v5
	v_sub_u32_e32 v30, v0, v3
	s_and_saveexec_b64 s[4:5], s[0:1]
	s_xor_b64 s[0:1], exec, s[4:5]
; %bb.10:
	v_add_u32_e32 v24, 0xd2, v30
; %bb.11:
	s_or_saveexec_b64 s[4:5], s[0:1]
	v_lshlrev_b64 v[28:29], 4, v[1:2]
                                        ; implicit-def: $vgpr22_vgpr23
                                        ; implicit-def: $vgpr18_vgpr19
                                        ; implicit-def: $vgpr6_vgpr7
                                        ; implicit-def: $vgpr14_vgpr15
                                        ; implicit-def: $vgpr2_vgpr3
                                        ; implicit-def: $vgpr10_vgpr11
	s_xor_b64 exec, exec, s[4:5]
	s_cbranch_execz .LBB0_15
; %bb.12:
	v_mad_u64_u32 v[0:1], s[0:1], s2, v30, 0
	v_add_u32_e32 v5, 0x20d, v30
	v_mov_b32_e32 v4, s13
	v_mad_u64_u32 v[1:2], s[0:1], s3, v30, v[1:2]
	v_mad_u64_u32 v[2:3], s[0:1], s2, v5, 0
	v_add_co_u32_e64 v18, s[0:1], s12, v28
	v_addc_co_u32_e64 v19, s[0:1], v4, v29, s[0:1]
	v_mad_u64_u32 v[3:4], s[0:1], s3, v5, v[3:4]
	v_add_u32_e32 v24, 0xd2, v30
	v_mad_u64_u32 v[4:5], s[0:1], s2, v24, 0
	v_lshlrev_b64 v[0:1], 4, v[0:1]
	v_add_co_u32_e64 v6, s[0:1], v18, v0
	v_addc_co_u32_e64 v7, s[0:1], v19, v1, s[0:1]
	v_lshlrev_b64 v[0:1], 4, v[2:3]
	v_mov_b32_e32 v2, v5
	v_mad_u64_u32 v[2:3], s[0:1], s3, v24, v[2:3]
	v_add_u32_e32 v3, 0x2df, v30
	v_mad_u64_u32 v[12:13], s[0:1], s2, v3, 0
	v_add_co_u32_e64 v14, s[0:1], v18, v0
	v_mov_b32_e32 v5, v2
	v_mov_b32_e32 v2, v13
	v_addc_co_u32_e64 v15, s[0:1], v19, v1, s[0:1]
	v_lshlrev_b64 v[0:1], 4, v[4:5]
	v_mad_u64_u32 v[4:5], s[0:1], s3, v3, v[2:3]
	v_add_co_u32_e64 v16, s[0:1], v18, v0
	v_mov_b32_e32 v13, v4
	v_lshlrev_b64 v[4:5], 4, v[12:13]
	v_addc_co_u32_e64 v17, s[0:1], v19, v1, s[0:1]
	v_add_co_u32_e64 v20, s[0:1], v18, v4
	global_load_dwordx4 v[8:11], v[6:7], off
	global_load_dwordx4 v[0:3], v[14:15], off
	v_addc_co_u32_e64 v21, s[0:1], v19, v5, s[0:1]
	global_load_dwordx4 v[12:15], v[16:17], off
	global_load_dwordx4 v[4:7], v[20:21], off
	s_movk_i32 s0, 0x69
	v_cmp_gt_u32_e64 s[0:1], s0, v30
                                        ; implicit-def: $vgpr16_vgpr17
                                        ; implicit-def: $vgpr20_vgpr21
	s_and_saveexec_b64 s[6:7], s[0:1]
	s_cbranch_execz .LBB0_14
; %bb.13:
	v_add_u32_e32 v22, 0x1a4, v30
	v_mad_u64_u32 v[16:17], s[0:1], s2, v22, 0
	v_add_u32_e32 v25, 0x3b1, v30
	v_mad_u64_u32 v[20:21], s[0:1], s2, v25, 0
	v_mad_u64_u32 v[22:23], s[0:1], s3, v22, v[17:18]
	v_mov_b32_e32 v17, v22
	v_mad_u64_u32 v[21:22], s[0:1], s3, v25, v[21:22]
	v_lshlrev_b64 v[16:17], 4, v[16:17]
	v_add_co_u32_e64 v25, s[0:1], v18, v16
	v_addc_co_u32_e64 v26, s[0:1], v19, v17, s[0:1]
	v_lshlrev_b64 v[16:17], 4, v[20:21]
	v_add_co_u32_e64 v31, s[0:1], v18, v16
	v_addc_co_u32_e64 v32, s[0:1], v19, v17, s[0:1]
	global_load_dwordx4 v[16:19], v[25:26], off
	global_load_dwordx4 v[20:23], v[31:32], off
.LBB0_14:
	s_or_b64 exec, exec, s[6:7]
.LBB0_15:
	s_or_b64 exec, exec, s[4:5]
	s_waitcnt vmcnt(2)
	v_add_f64 v[31:32], v[8:9], -v[0:1]
	v_add_f64 v[33:34], v[10:11], -v[2:3]
	s_waitcnt vmcnt(0)
	v_add_f64 v[0:1], v[16:17], -v[20:21]
	v_add_f64 v[2:3], v[18:19], -v[22:23]
	v_add_f64 v[4:5], v[12:13], -v[4:5]
	v_add_f64 v[6:7], v[14:15], -v[6:7]
	s_movk_i32 s0, 0x69
	v_lshl_add_u32 v26, v30, 5, 0
	v_fma_f64 v[20:21], v[8:9], 2.0, -v[31:32]
	v_fma_f64 v[22:23], v[10:11], 2.0, -v[33:34]
	;; [unrolled: 1-line block ×6, first 2 shown]
	v_lshl_add_u32 v25, v24, 5, 0
	v_cmp_gt_u32_e64 s[0:1], s0, v30
	ds_write_b128 v26, v[31:34] offset:16
	ds_write_b128 v26, v[20:23]
	ds_write_b128 v25, v[12:15]
	ds_write_b128 v25, v[4:7] offset:16
	s_and_saveexec_b64 s[4:5], s[0:1]
	s_cbranch_execz .LBB0_17
; %bb.16:
	ds_write_b128 v26, v[8:11] offset:13440
	ds_write_b128 v26, v[0:3] offset:13456
.LBB0_17:
	s_or_b64 exec, exec, s[4:5]
	v_lshlrev_b32_e32 v12, 4, v30
	v_sub_u32_e32 v16, v26, v12
	s_waitcnt lgkmcnt(0)
	s_barrier
	v_sub_u32_e32 v27, 0, v12
	ds_read_b128 v[12:15], v16
	ds_read_b128 v[20:23], v16 offset:5600
	ds_read_b128 v[16:19], v16 offset:11200
	s_movk_i32 s0, 0x8c
	v_cmp_gt_u32_e64 s[0:1], s0, v30
	v_add_u32_e32 v31, v26, v27
	v_lshlrev_b32_e32 v26, 4, v24
	s_and_saveexec_b64 s[4:5], s[0:1]
	s_cbranch_execz .LBB0_19
; %bb.18:
	v_sub_u32_e32 v0, v25, v26
	ds_read_b128 v[4:7], v0
	ds_read_b128 v[8:11], v31 offset:8960
	ds_read_b128 v[0:3], v31 offset:14560
.LBB0_19:
	s_or_b64 exec, exec, s[4:5]
	v_and_b32_e32 v27, 1, v30
	v_lshlrev_b32_e32 v40, 5, v27
	global_load_dwordx4 v[32:35], v40, s[8:9]
	global_load_dwordx4 v[36:39], v40, s[8:9] offset:16
	s_mov_b32 s4, 0xe8584caa
	s_mov_b32 s5, 0x3febb67a
	;; [unrolled: 1-line block ×4, first 2 shown]
	v_lshrrev_b32_e32 v52, 1, v30
	s_waitcnt vmcnt(0) lgkmcnt(0)
	s_barrier
	v_mul_f64 v[40:41], v[22:23], v[34:35]
	v_mul_f64 v[42:43], v[20:21], v[34:35]
	;; [unrolled: 1-line block ×8, first 2 shown]
	v_fma_f64 v[20:21], v[20:21], v[32:33], -v[40:41]
	v_fma_f64 v[22:23], v[22:23], v[32:33], v[42:43]
	v_fma_f64 v[40:41], v[16:17], v[36:37], -v[44:45]
	v_fma_f64 v[42:43], v[18:19], v[36:37], v[46:47]
	v_fma_f64 v[16:17], v[8:9], v[32:33], -v[48:49]
	v_fma_f64 v[18:19], v[10:11], v[32:33], v[34:35]
	v_fma_f64 v[8:9], v[0:1], v[36:37], -v[50:51]
	v_fma_f64 v[10:11], v[2:3], v[36:37], v[38:39]
	v_add_f64 v[36:37], v[12:13], v[20:21]
	v_add_f64 v[32:33], v[14:15], v[22:23]
	;; [unrolled: 1-line block ×4, first 2 shown]
	v_add_f64 v[44:45], v[22:23], -v[42:43]
	v_add_f64 v[46:47], v[20:21], -v[40:41]
	v_add_f64 v[34:35], v[16:17], v[8:9]
	v_add_f64 v[38:39], v[18:19], v[10:11]
	v_add_f64 v[20:21], v[18:19], -v[10:11]
	v_add_f64 v[22:23], v[16:17], -v[8:9]
	v_fma_f64 v[0:1], v[0:1], -0.5, v[12:13]
	v_fma_f64 v[2:3], v[2:3], -0.5, v[14:15]
	v_mul_u32_u24_e32 v48, 6, v52
	v_fma_f64 v[12:13], v[34:35], -0.5, v[4:5]
	v_fma_f64 v[14:15], v[38:39], -0.5, v[6:7]
	v_add_f64 v[34:35], v[32:33], v[42:43]
	v_add_f64 v[32:33], v[36:37], v[40:41]
	v_fma_f64 v[36:37], v[44:45], s[4:5], v[0:1]
	v_fma_f64 v[40:41], v[44:45], s[6:7], v[0:1]
	;; [unrolled: 1-line block ×6, first 2 shown]
	v_or_b32_e32 v44, v48, v27
	v_lshl_add_u32 v44, v44, 4, 0
	ds_write_b128 v44, v[32:35]
	ds_write_b128 v44, v[36:39] offset:32
	ds_write_b128 v44, v[40:43] offset:64
	s_and_saveexec_b64 s[6:7], s[0:1]
	s_cbranch_execz .LBB0_21
; %bb.20:
	v_add_f64 v[18:19], v[6:7], v[18:19]
	v_add_f64 v[4:5], v[4:5], v[16:17]
	v_mul_f64 v[22:23], v[22:23], s[4:5]
	v_mul_f64 v[16:17], v[20:21], s[4:5]
	v_lshrrev_b32_e32 v20, 1, v24
	v_add_f64 v[10:11], v[18:19], v[10:11]
	v_add_f64 v[8:9], v[4:5], v[8:9]
	v_add_f64 v[6:7], v[14:15], -v[22:23]
	v_add_f64 v[4:5], v[16:17], v[12:13]
	v_mul_lo_u32 v12, v20, 6
	v_or_b32_e32 v12, v12, v27
	v_lshl_add_u32 v12, v12, 4, 0
	ds_write_b128 v12, v[8:11]
	ds_write_b128 v12, v[4:7] offset:32
	ds_write_b128 v12, v[0:3] offset:64
.LBB0_21:
	s_or_b64 exec, exec, s[6:7]
	s_movk_i32 s0, 0xab
	v_mul_lo_u16_sdwa v4, v30, s0 dst_sel:DWORD dst_unused:UNUSED_PAD src0_sel:BYTE_0 src1_sel:DWORD
	v_lshrrev_b16_e32 v27, 10, v4
	v_mul_lo_u16_e32 v4, 6, v27
	v_sub_u16_e32 v48, v30, v4
	v_mov_b32_e32 v49, 6
	v_lshlrev_b32_sdwa v4, v49, v48 dst_sel:DWORD dst_unused:UNUSED_PAD src0_sel:DWORD src1_sel:BYTE_0
	s_waitcnt lgkmcnt(0)
	s_barrier
	global_load_dwordx4 v[5:8], v4, s[8:9] offset:64
	global_load_dwordx4 v[9:12], v4, s[8:9] offset:80
	;; [unrolled: 1-line block ×4, first 2 shown]
	v_sub_u32_e32 v4, v25, v26
	ds_read_b128 v[21:24], v4
	ds_read_b128 v[32:35], v31 offset:6720
	s_mov_b32 s10, 0x134454ff
	s_mov_b32 s11, 0x3fee6f0e
	;; [unrolled: 1-line block ×10, first 2 shown]
	s_movk_i32 s16, 0x89
	v_mul_u32_u24_e32 v27, 0x1e0, v27
	s_waitcnt vmcnt(3) lgkmcnt(1)
	v_mul_f64 v[25:26], v[23:24], v[7:8]
	v_mul_f64 v[7:8], v[21:22], v[7:8]
	s_waitcnt vmcnt(2) lgkmcnt(0)
	v_mul_f64 v[36:37], v[34:35], v[11:12]
	v_mul_f64 v[11:12], v[32:33], v[11:12]
	v_fma_f64 v[21:22], v[21:22], v[5:6], -v[25:26]
	v_fma_f64 v[23:24], v[23:24], v[5:6], v[7:8]
	ds_read_b128 v[5:8], v31 offset:10080
	v_fma_f64 v[32:33], v[32:33], v[9:10], -v[36:37]
	v_fma_f64 v[34:35], v[34:35], v[9:10], v[11:12]
	ds_read_b128 v[9:12], v31 offset:13440
	s_waitcnt vmcnt(1) lgkmcnt(1)
	v_mul_f64 v[25:26], v[7:8], v[15:16]
	v_mul_f64 v[15:16], v[5:6], v[15:16]
	s_waitcnt vmcnt(0) lgkmcnt(0)
	v_mul_f64 v[36:37], v[11:12], v[19:20]
	v_add_f64 v[44:45], v[32:33], -v[21:22]
	v_add_f64 v[40:41], v[34:35], -v[23:24]
	v_fma_f64 v[25:26], v[5:6], v[13:14], -v[25:26]
	v_mul_f64 v[5:6], v[9:10], v[19:20]
	v_fma_f64 v[13:14], v[7:8], v[13:14], v[15:16]
	v_fma_f64 v[9:10], v[9:10], v[17:18], -v[36:37]
	v_add_f64 v[15:16], v[32:33], v[25:26]
	v_fma_f64 v[11:12], v[11:12], v[17:18], v[5:6]
	ds_read_b128 v[5:8], v31
	v_add_f64 v[17:18], v[21:22], v[9:10]
	v_add_f64 v[19:20], v[34:35], v[13:14]
	v_add_f64 v[46:47], v[9:10], -v[25:26]
	s_waitcnt lgkmcnt(0)
	v_add_f64 v[38:39], v[7:8], v[23:24]
	v_fma_f64 v[15:16], v[15:16], -0.5, v[5:6]
	v_add_f64 v[36:37], v[23:24], v[11:12]
	v_add_f64 v[42:43], v[11:12], -v[13:14]
	v_fma_f64 v[17:18], v[17:18], -0.5, v[5:6]
	v_fma_f64 v[19:20], v[19:20], -0.5, v[7:8]
	v_add_f64 v[5:6], v[5:6], v[21:22]
	s_barrier
	v_fma_f64 v[36:37], v[36:37], -0.5, v[7:8]
	v_add_f64 v[7:8], v[38:39], v[34:35]
	v_add_f64 v[38:39], v[23:24], -v[34:35]
	v_add_f64 v[34:35], v[34:35], -v[13:14]
	v_add_f64 v[5:6], v[5:6], v[32:33]
	v_add_f64 v[23:24], v[23:24], -v[11:12]
	v_add_f64 v[7:8], v[7:8], v[13:14]
	;; [unrolled: 2-line block ×3, first 2 shown]
	v_add_f64 v[5:6], v[5:6], v[25:26]
	v_add_f64 v[7:8], v[7:8], v[11:12]
	v_add_f64 v[11:12], v[21:22], -v[32:33]
	v_add_f64 v[32:33], v[32:33], -v[25:26]
	v_add_f64 v[5:6], v[5:6], v[9:10]
	v_add_f64 v[25:26], v[25:26], -v[9:10]
	v_add_f64 v[9:10], v[21:22], -v[9:10]
	v_add_f64 v[40:41], v[40:41], v[13:14]
	v_fma_f64 v[13:14], v[23:24], s[14:15], v[15:16]
	v_add_f64 v[21:22], v[11:12], v[46:47]
	v_fma_f64 v[11:12], v[23:24], s[10:11], v[15:16]
	v_fma_f64 v[15:16], v[34:35], s[14:15], v[17:18]
	;; [unrolled: 1-line block ×3, first 2 shown]
	v_add_f64 v[25:26], v[44:45], v[25:26]
	v_mov_b32_e32 v46, 4
	v_fma_f64 v[11:12], v[34:35], s[0:1], v[11:12]
	v_fma_f64 v[34:35], v[34:35], s[4:5], v[13:14]
	;; [unrolled: 1-line block ×14, first 2 shown]
	v_lshlrev_b32_sdwa v32, v46, v48 dst_sel:DWORD dst_unused:UNUSED_PAD src0_sel:DWORD src1_sel:BYTE_0
	v_fma_f64 v[15:16], v[40:41], s[6:7], v[15:16]
	v_fma_f64 v[11:12], v[38:39], s[6:7], v[17:18]
	v_mul_lo_u16_sdwa v17, v30, s16 dst_sel:DWORD dst_unused:UNUSED_PAD src0_sel:BYTE_0 src1_sel:DWORD
	v_lshrrev_b16_e32 v47, 12, v17
	v_mul_lo_u16_e32 v17, 30, v47
	v_sub_u16_e32 v50, v30, v17
	v_fma_f64 v[17:18], v[21:22], s[6:7], v[34:35]
	v_fma_f64 v[21:22], v[25:26], s[6:7], v[23:24]
	;; [unrolled: 1-line block ×4, first 2 shown]
	v_lshlrev_b32_sdwa v33, v49, v50 dst_sel:DWORD dst_unused:UNUSED_PAD src0_sel:DWORD src1_sel:BYTE_0
	v_add3_u32 v25, 0, v27, v32
	ds_write_b128 v25, v[5:8]
	ds_write_b128 v25, v[9:12] offset:96
	ds_write_b128 v25, v[13:16] offset:192
	;; [unrolled: 1-line block ×4, first 2 shown]
	s_waitcnt lgkmcnt(0)
	s_barrier
	global_load_dwordx4 v[5:8], v33, s[8:9] offset:448
	global_load_dwordx4 v[9:12], v33, s[8:9] offset:464
	;; [unrolled: 1-line block ×4, first 2 shown]
	ds_read_b128 v[21:24], v4
	ds_read_b128 v[32:35], v31 offset:6720
	s_waitcnt vmcnt(3) lgkmcnt(1)
	v_mul_f64 v[25:26], v[23:24], v[7:8]
	v_mul_f64 v[7:8], v[21:22], v[7:8]
	s_waitcnt vmcnt(2) lgkmcnt(0)
	v_mul_f64 v[36:37], v[34:35], v[11:12]
	v_mul_f64 v[11:12], v[32:33], v[11:12]
	v_fma_f64 v[25:26], v[21:22], v[5:6], -v[25:26]
	v_fma_f64 v[38:39], v[23:24], v[5:6], v[7:8]
	ds_read_b128 v[4:7], v31 offset:10080
	ds_read_b128 v[21:24], v31 offset:13440
	v_fma_f64 v[32:33], v[32:33], v[9:10], -v[36:37]
	v_fma_f64 v[8:9], v[34:35], v[9:10], v[11:12]
	s_waitcnt vmcnt(1) lgkmcnt(1)
	v_mul_f64 v[10:11], v[6:7], v[15:16]
	s_waitcnt vmcnt(0) lgkmcnt(0)
	v_mul_f64 v[34:35], v[23:24], v[19:20]
	v_mul_f64 v[15:16], v[4:5], v[15:16]
	;; [unrolled: 1-line block ×3, first 2 shown]
	v_add_f64 v[40:41], v[25:26], -v[32:33]
	v_fma_f64 v[10:11], v[4:5], v[13:14], -v[10:11]
	v_fma_f64 v[21:22], v[21:22], v[17:18], -v[34:35]
	v_fma_f64 v[12:13], v[6:7], v[13:14], v[15:16]
	v_fma_f64 v[14:15], v[23:24], v[17:18], v[19:20]
	ds_read_b128 v[4:7], v31
	s_waitcnt lgkmcnt(0)
	s_barrier
	v_add_f64 v[16:17], v[32:33], v[10:11]
	v_add_f64 v[18:19], v[25:26], v[21:22]
	;; [unrolled: 1-line block ×5, first 2 shown]
	v_add_f64 v[42:43], v[10:11], -v[21:22]
	v_add_f64 v[44:45], v[14:15], -v[12:13]
	v_fma_f64 v[16:17], v[16:17], -0.5, v[4:5]
	v_fma_f64 v[18:19], v[18:19], -0.5, v[4:5]
	;; [unrolled: 1-line block ×4, first 2 shown]
	v_add_f64 v[4:5], v[6:7], v[38:39]
	v_add_f64 v[6:7], v[21:22], -v[10:11]
	v_add_f64 v[4:5], v[4:5], v[8:9]
	v_add_f64 v[40:41], v[40:41], v[6:7]
	v_add_f64 v[6:7], v[32:33], -v[25:26]
	v_add_f64 v[25:26], v[25:26], -v[21:22]
	v_add_f64 v[42:43], v[6:7], v[42:43]
	v_add_f64 v[6:7], v[38:39], -v[8:9]
	v_add_f64 v[44:45], v[6:7], v[44:45]
	v_lshlrev_b32_sdwa v6, v46, v50 dst_sel:DWORD dst_unused:UNUSED_PAD src0_sel:DWORD src1_sel:BYTE_0
	v_mul_u32_u24_e32 v7, 0x960, v47
	v_add3_u32 v46, 0, v7, v6
	v_add_f64 v[6:7], v[36:37], v[32:33]
	v_add_f64 v[32:33], v[32:33], -v[10:11]
	v_add_f64 v[36:37], v[4:5], v[12:13]
	v_add_f64 v[4:5], v[12:13], -v[14:15]
	;; [unrolled: 2-line block ×3, first 2 shown]
	v_add_f64 v[8:9], v[8:9], -v[12:13]
	v_add_f64 v[12:13], v[38:39], -v[14:15]
	v_add_f64 v[38:39], v[10:11], v[4:5]
	v_add_f64 v[4:5], v[6:7], v[21:22]
	v_fma_f64 v[10:11], v[12:13], s[10:11], v[16:17]
	v_fma_f64 v[16:17], v[12:13], s[14:15], v[16:17]
	v_add_f64 v[6:7], v[36:37], v[14:15]
	v_fma_f64 v[14:15], v[8:9], s[14:15], v[18:19]
	v_fma_f64 v[18:19], v[8:9], s[10:11], v[18:19]
	;; [unrolled: 1-line block ×12, first 2 shown]
	s_movk_i32 s10, 0x96
	v_fma_f64 v[16:17], v[40:41], s[6:7], v[16:17]
	v_fma_f64 v[36:37], v[25:26], s[4:5], v[8:9]
	;; [unrolled: 1-line block ×8, first 2 shown]
	v_cmp_gt_u32_e64 s[0:1], s10, v30
	v_fma_f64 v[14:15], v[38:39], s[6:7], v[36:37]
	v_fma_f64 v[26:27], v[38:39], s[6:7], v[26:27]
	ds_write_b128 v46, v[4:7]
	ds_write_b128 v46, v[8:11] offset:480
	ds_write_b128 v46, v[12:15] offset:960
	;; [unrolled: 1-line block ×4, first 2 shown]
	s_waitcnt lgkmcnt(0)
	s_barrier
	s_waitcnt lgkmcnt(0)
                                        ; implicit-def: $vgpr22_vgpr23
	s_and_saveexec_b64 s[4:5], s[0:1]
	s_cbranch_execnz .LBB0_24
; %bb.22:
	s_or_b64 exec, exec, s[4:5]
	s_and_b64 s[0:1], vcc, s[0:1]
	s_and_saveexec_b64 s[4:5], s[0:1]
	s_cbranch_execnz .LBB0_25
.LBB0_23:
	s_endpgm
.LBB0_24:
	ds_read_b128 v[4:7], v31
	ds_read_b128 v[8:11], v31 offset:2400
	ds_read_b128 v[12:15], v31 offset:4800
	;; [unrolled: 1-line block ×6, first 2 shown]
	s_or_b64 exec, exec, s[4:5]
	s_and_b64 s[0:1], vcc, s[0:1]
	s_and_saveexec_b64 s[4:5], s[0:1]
	s_cbranch_execz .LBB0_23
.LBB0_25:
	v_mul_u32_u24_e32 v31, 6, v30
	v_lshlrev_b32_e32 v55, 4, v31
	global_load_dwordx4 v[31:34], v55, s[8:9] offset:2400
	global_load_dwordx4 v[35:38], v55, s[8:9] offset:2416
	;; [unrolled: 1-line block ×6, first 2 shown]
	v_add_co_u32_e32 v58, vcc, s12, v28
	s_mov_b32 s14, 0x37e14327
	s_mov_b32 s6, 0xe976ee23
	;; [unrolled: 1-line block ×16, first 2 shown]
	v_add_u32_e32 v57, 0x96, v30
	s_waitcnt vmcnt(5) lgkmcnt(3)
	v_mul_f64 v[55:56], v[26:27], v[33:34]
	v_mul_f64 v[33:34], v[24:25], v[33:34]
	v_fma_f64 v[24:25], v[24:25], v[31:32], -v[55:56]
	v_fma_f64 v[26:27], v[26:27], v[31:32], v[33:34]
	s_waitcnt vmcnt(4) lgkmcnt(2)
	v_mul_f64 v[31:32], v[18:19], v[37:38]
	v_mul_f64 v[33:34], v[16:17], v[37:38]
	v_mov_b32_e32 v55, s13
	v_addc_co_u32_e32 v59, vcc, v55, v29, vcc
	s_waitcnt vmcnt(2) lgkmcnt(1)
	v_mul_f64 v[28:29], v[2:3], v[45:46]
	v_mad_u64_u32 v[37:38], s[20:21], s2, v30, 0
	v_fma_f64 v[16:17], v[16:17], v[35:36], -v[31:32]
	v_fma_f64 v[18:19], v[18:19], v[35:36], v[33:34]
	v_mul_f64 v[31:32], v[14:15], v[41:42]
	v_mul_f64 v[33:34], v[12:13], v[41:42]
	s_waitcnt vmcnt(1)
	v_mul_f64 v[35:36], v[10:11], v[49:50]
	s_waitcnt vmcnt(0) lgkmcnt(0)
	v_mul_f64 v[41:42], v[22:23], v[53:54]
	v_fma_f64 v[12:13], v[12:13], v[39:40], -v[31:32]
	v_fma_f64 v[14:15], v[14:15], v[39:40], v[33:34]
	v_mul_f64 v[31:32], v[0:1], v[45:46]
	v_mul_f64 v[33:34], v[8:9], v[49:50]
	;; [unrolled: 1-line block ×3, first 2 shown]
	v_fma_f64 v[0:1], v[0:1], v[43:44], -v[28:29]
	v_fma_f64 v[8:9], v[8:9], v[47:48], -v[35:36]
	;; [unrolled: 1-line block ×3, first 2 shown]
	v_mov_b32_e32 v28, v38
	v_mad_u64_u32 v[45:46], s[12:13], s2, v57, 0
	v_fma_f64 v[2:3], v[2:3], v[43:44], v[31:32]
	v_fma_f64 v[10:11], v[10:11], v[47:48], v[33:34]
	;; [unrolled: 1-line block ×3, first 2 shown]
	v_add_f64 v[33:34], v[12:13], -v[0:1]
	v_add_f64 v[35:36], v[8:9], -v[20:21]
	v_add_f64 v[0:1], v[12:13], v[0:1]
	v_add_f64 v[8:9], v[8:9], v[20:21]
	v_add_f64 v[31:32], v[16:17], -v[24:25]
	v_add_f64 v[40:41], v[14:15], v[2:3]
	v_add_f64 v[38:39], v[18:19], v[26:27]
	;; [unrolled: 1-line block ×4, first 2 shown]
	v_add_f64 v[12:13], v[18:19], -v[26:27]
	v_add_f64 v[2:3], v[14:15], -v[2:3]
	v_add_f64 v[49:50], v[0:1], v[8:9]
	v_add_f64 v[10:11], v[10:11], -v[22:23]
	v_add_f64 v[14:15], v[31:32], v[33:34]
	;; [unrolled: 2-line block ×3, first 2 shown]
	v_add_f64 v[24:25], v[42:43], -v[38:39]
	v_add_f64 v[47:48], v[8:9], -v[16:17]
	;; [unrolled: 1-line block ×5, first 2 shown]
	v_add_f64 v[16:17], v[16:17], v[49:50]
	v_add_f64 v[22:23], v[38:39], -v[40:41]
	v_add_f64 v[26:27], v[38:39], v[26:27]
	v_add_f64 v[51:52], v[12:13], v[2:3]
	v_add_f64 v[33:34], v[33:34], -v[35:36]
	v_add_f64 v[40:41], v[40:41], -v[42:43]
	;; [unrolled: 1-line block ×4, first 2 shown]
	v_mul_f64 v[24:25], v[24:25], s[14:15]
	v_mul_f64 v[47:48], v[47:48], s[14:15]
	v_add_f64 v[12:13], v[10:11], -v[12:13]
	v_mul_f64 v[18:19], v[18:19], s[6:7]
	v_mul_f64 v[38:39], v[31:32], s[8:9]
	;; [unrolled: 1-line block ×3, first 2 shown]
	v_add_f64 v[2:3], v[6:7], v[26:27]
	v_add_f64 v[0:1], v[4:5], v[16:17]
	v_add_f64 v[14:15], v[14:15], v[35:36]
	v_mul_f64 v[35:36], v[22:23], s[8:9]
	v_add_f64 v[10:11], v[51:52], v[10:11]
	v_mul_f64 v[51:52], v[33:34], s[16:17]
	v_mul_f64 v[53:54], v[42:43], s[16:17]
	v_fma_f64 v[22:23], v[22:23], s[8:9], v[24:25]
	v_fma_f64 v[6:7], v[31:32], s[8:9], v[47:48]
	v_fma_f64 v[24:25], v[40:41], s[18:19], -v[24:25]
	v_fma_f64 v[31:32], v[8:9], s[18:19], -v[47:48]
	s_mov_b32 s19, 0x3fe77f67
	v_fma_f64 v[55:56], v[20:21], s[4:5], v[18:19]
	v_fma_f64 v[4:5], v[12:13], s[4:5], v[49:50]
	s_mov_b32 s5, 0xbfd5d0dc
	v_fma_f64 v[18:19], v[33:34], s[16:17], -v[18:19]
	v_fma_f64 v[33:34], v[42:43], s[16:17], -v[49:50]
	v_fma_f64 v[8:9], v[8:9], s[18:19], -v[38:39]
	v_fma_f64 v[26:27], v[26:27], s[10:11], v[2:3]
	v_fma_f64 v[16:17], v[16:17], s[10:11], v[0:1]
	v_fma_f64 v[20:21], v[20:21], s[4:5], -v[51:52]
	v_fma_f64 v[12:13], v[12:13], s[4:5], -v[53:54]
	;; [unrolled: 1-line block ×3, first 2 shown]
	v_fma_f64 v[39:40], v[14:15], s[0:1], v[55:56]
	v_fma_f64 v[33:34], v[10:11], s[0:1], v[33:34]
	;; [unrolled: 1-line block ×3, first 2 shown]
	v_add_f64 v[47:48], v[22:23], v[26:27]
	v_add_f64 v[49:50], v[6:7], v[16:17]
	;; [unrolled: 1-line block ×5, first 2 shown]
	v_fma_f64 v[18:19], v[14:15], s[0:1], v[18:19]
	v_fma_f64 v[20:21], v[14:15], s[0:1], v[20:21]
	;; [unrolled: 1-line block ×3, first 2 shown]
	v_add_f64 v[26:27], v[35:36], v[26:27]
	v_mad_u64_u32 v[28:29], s[12:13], s3, v30, v[28:29]
	v_mov_b32_e32 v31, v46
	v_add_f64 v[12:13], v[33:34], v[16:17]
	v_mov_b32_e32 v38, v28
	v_add_f64 v[16:17], v[16:17], -v[33:34]
	v_mad_u64_u32 v[31:32], s[0:1], s3, v57, v[31:32]
	v_add_u32_e32 v34, 0x12c, v30
	v_lshlrev_b64 v[28:29], 4, v[37:38]
	v_add_f64 v[10:11], v[20:21], v[22:23]
	v_add_f64 v[8:9], v[24:25], -v[43:44]
	v_add_f64 v[14:15], v[26:27], -v[18:19]
	v_add_f64 v[18:19], v[18:19], v[26:27]
	v_add_f64 v[22:23], v[22:23], -v[20:21]
	v_add_f64 v[20:21], v[43:44], v[24:25]
	;; [unrolled: 2-line block ×3, first 2 shown]
	v_mad_u64_u32 v[32:33], s[0:1], s2, v34, 0
	v_add_co_u32_e32 v28, vcc, v58, v28
	v_addc_co_u32_e32 v29, vcc, v59, v29, vcc
	v_mov_b32_e32 v46, v31
	global_store_dwordx4 v[28:29], v[0:3], off
	v_add_f64 v[4:5], v[49:50], -v[41:42]
	v_lshlrev_b64 v[0:1], 4, v[45:46]
	v_mov_b32_e32 v2, v33
	v_mad_u64_u32 v[2:3], s[0:1], s3, v34, v[2:3]
	v_add_co_u32_e32 v0, vcc, v58, v0
	v_addc_co_u32_e32 v1, vcc, v59, v1, vcc
	global_store_dwordx4 v[0:1], v[24:27], off
	v_mov_b32_e32 v33, v2
	v_add_u32_e32 v24, 0x1c2, v30
	v_mad_u64_u32 v[2:3], s[0:1], s2, v24, 0
	v_add_u32_e32 v27, 0x258, v30
	v_lshlrev_b64 v[0:1], 4, v[32:33]
	v_mad_u64_u32 v[24:25], s[0:1], s3, v24, v[3:4]
	v_mad_u64_u32 v[25:26], s[0:1], s2, v27, 0
	v_add_co_u32_e32 v0, vcc, v58, v0
	v_addc_co_u32_e32 v1, vcc, v59, v1, vcc
	v_mov_b32_e32 v3, v24
	global_store_dwordx4 v[0:1], v[20:23], off
	v_lshlrev_b64 v[0:1], 4, v[2:3]
	v_mov_b32_e32 v2, v26
	v_mad_u64_u32 v[2:3], s[0:1], s3, v27, v[2:3]
	v_add_co_u32_e32 v0, vcc, v58, v0
	v_addc_co_u32_e32 v1, vcc, v59, v1, vcc
	global_store_dwordx4 v[0:1], v[16:19], off
	v_mov_b32_e32 v26, v2
	v_add_u32_e32 v16, 0x2ee, v30
	v_mad_u64_u32 v[2:3], s[0:1], s2, v16, 0
	v_add_u32_e32 v19, 0x384, v30
	v_lshlrev_b64 v[0:1], 4, v[25:26]
	v_mad_u64_u32 v[16:17], s[0:1], s3, v16, v[3:4]
	v_mad_u64_u32 v[17:18], s[0:1], s2, v19, 0
	v_add_co_u32_e32 v0, vcc, v58, v0
	v_addc_co_u32_e32 v1, vcc, v59, v1, vcc
	v_mov_b32_e32 v3, v16
	global_store_dwordx4 v[0:1], v[12:15], off
	v_lshlrev_b64 v[0:1], 4, v[2:3]
	v_mov_b32_e32 v2, v18
	v_mad_u64_u32 v[2:3], s[0:1], s3, v19, v[2:3]
	v_add_f64 v[6:7], v[39:40], v[47:48]
	v_add_co_u32_e32 v0, vcc, v58, v0
	v_addc_co_u32_e32 v1, vcc, v59, v1, vcc
	v_mov_b32_e32 v18, v2
	global_store_dwordx4 v[0:1], v[8:11], off
	v_lshlrev_b64 v[0:1], 4, v[17:18]
	v_add_co_u32_e32 v0, vcc, v58, v0
	v_addc_co_u32_e32 v1, vcc, v59, v1, vcc
	global_store_dwordx4 v[0:1], v[4:7], off
	s_endpgm
	.section	.rodata,"a",@progbits
	.p2align	6, 0x0
	.amdhsa_kernel fft_rtc_fwd_len1050_factors_2_3_5_5_7_wgs_210_tpt_210_dp_ip_CI_sbrr_dirReg
		.amdhsa_group_segment_fixed_size 0
		.amdhsa_private_segment_fixed_size 0
		.amdhsa_kernarg_size 88
		.amdhsa_user_sgpr_count 6
		.amdhsa_user_sgpr_private_segment_buffer 1
		.amdhsa_user_sgpr_dispatch_ptr 0
		.amdhsa_user_sgpr_queue_ptr 0
		.amdhsa_user_sgpr_kernarg_segment_ptr 1
		.amdhsa_user_sgpr_dispatch_id 0
		.amdhsa_user_sgpr_flat_scratch_init 0
		.amdhsa_user_sgpr_private_segment_size 0
		.amdhsa_uses_dynamic_stack 0
		.amdhsa_system_sgpr_private_segment_wavefront_offset 0
		.amdhsa_system_sgpr_workgroup_id_x 1
		.amdhsa_system_sgpr_workgroup_id_y 0
		.amdhsa_system_sgpr_workgroup_id_z 0
		.amdhsa_system_sgpr_workgroup_info 0
		.amdhsa_system_vgpr_workitem_id 0
		.amdhsa_next_free_vgpr 60
		.amdhsa_next_free_sgpr 24
		.amdhsa_reserve_vcc 1
		.amdhsa_reserve_flat_scratch 0
		.amdhsa_float_round_mode_32 0
		.amdhsa_float_round_mode_16_64 0
		.amdhsa_float_denorm_mode_32 3
		.amdhsa_float_denorm_mode_16_64 3
		.amdhsa_dx10_clamp 1
		.amdhsa_ieee_mode 1
		.amdhsa_fp16_overflow 0
		.amdhsa_exception_fp_ieee_invalid_op 0
		.amdhsa_exception_fp_denorm_src 0
		.amdhsa_exception_fp_ieee_div_zero 0
		.amdhsa_exception_fp_ieee_overflow 0
		.amdhsa_exception_fp_ieee_underflow 0
		.amdhsa_exception_fp_ieee_inexact 0
		.amdhsa_exception_int_div_zero 0
	.end_amdhsa_kernel
	.text
.Lfunc_end0:
	.size	fft_rtc_fwd_len1050_factors_2_3_5_5_7_wgs_210_tpt_210_dp_ip_CI_sbrr_dirReg, .Lfunc_end0-fft_rtc_fwd_len1050_factors_2_3_5_5_7_wgs_210_tpt_210_dp_ip_CI_sbrr_dirReg
                                        ; -- End function
	.section	.AMDGPU.csdata,"",@progbits
; Kernel info:
; codeLenInByte = 5588
; NumSgprs: 28
; NumVgprs: 60
; ScratchSize: 0
; MemoryBound: 1
; FloatMode: 240
; IeeeMode: 1
; LDSByteSize: 0 bytes/workgroup (compile time only)
; SGPRBlocks: 3
; VGPRBlocks: 14
; NumSGPRsForWavesPerEU: 28
; NumVGPRsForWavesPerEU: 60
; Occupancy: 4
; WaveLimiterHint : 1
; COMPUTE_PGM_RSRC2:SCRATCH_EN: 0
; COMPUTE_PGM_RSRC2:USER_SGPR: 6
; COMPUTE_PGM_RSRC2:TRAP_HANDLER: 0
; COMPUTE_PGM_RSRC2:TGID_X_EN: 1
; COMPUTE_PGM_RSRC2:TGID_Y_EN: 0
; COMPUTE_PGM_RSRC2:TGID_Z_EN: 0
; COMPUTE_PGM_RSRC2:TIDIG_COMP_CNT: 0
	.type	__hip_cuid_62bee4b4f51fbe91,@object ; @__hip_cuid_62bee4b4f51fbe91
	.section	.bss,"aw",@nobits
	.globl	__hip_cuid_62bee4b4f51fbe91
__hip_cuid_62bee4b4f51fbe91:
	.byte	0                               ; 0x0
	.size	__hip_cuid_62bee4b4f51fbe91, 1

	.ident	"AMD clang version 19.0.0git (https://github.com/RadeonOpenCompute/llvm-project roc-6.4.0 25133 c7fe45cf4b819c5991fe208aaa96edf142730f1d)"
	.section	".note.GNU-stack","",@progbits
	.addrsig
	.addrsig_sym __hip_cuid_62bee4b4f51fbe91
	.amdgpu_metadata
---
amdhsa.kernels:
  - .args:
      - .actual_access:  read_only
        .address_space:  global
        .offset:         0
        .size:           8
        .value_kind:     global_buffer
      - .offset:         8
        .size:           8
        .value_kind:     by_value
      - .actual_access:  read_only
        .address_space:  global
        .offset:         16
        .size:           8
        .value_kind:     global_buffer
      - .actual_access:  read_only
        .address_space:  global
        .offset:         24
        .size:           8
        .value_kind:     global_buffer
      - .offset:         32
        .size:           8
        .value_kind:     by_value
      - .actual_access:  read_only
        .address_space:  global
        .offset:         40
        .size:           8
        .value_kind:     global_buffer
      - .actual_access:  read_only
        .address_space:  global
        .offset:         48
        .size:           8
        .value_kind:     global_buffer
      - .offset:         56
        .size:           4
        .value_kind:     by_value
      - .actual_access:  read_only
        .address_space:  global
        .offset:         64
        .size:           8
        .value_kind:     global_buffer
      - .actual_access:  read_only
        .address_space:  global
        .offset:         72
        .size:           8
        .value_kind:     global_buffer
      - .address_space:  global
        .offset:         80
        .size:           8
        .value_kind:     global_buffer
    .group_segment_fixed_size: 0
    .kernarg_segment_align: 8
    .kernarg_segment_size: 88
    .language:       OpenCL C
    .language_version:
      - 2
      - 0
    .max_flat_workgroup_size: 210
    .name:           fft_rtc_fwd_len1050_factors_2_3_5_5_7_wgs_210_tpt_210_dp_ip_CI_sbrr_dirReg
    .private_segment_fixed_size: 0
    .sgpr_count:     28
    .sgpr_spill_count: 0
    .symbol:         fft_rtc_fwd_len1050_factors_2_3_5_5_7_wgs_210_tpt_210_dp_ip_CI_sbrr_dirReg.kd
    .uniform_work_group_size: 1
    .uses_dynamic_stack: false
    .vgpr_count:     60
    .vgpr_spill_count: 0
    .wavefront_size: 64
amdhsa.target:   amdgcn-amd-amdhsa--gfx906
amdhsa.version:
  - 1
  - 2
...

	.end_amdgpu_metadata
